;; amdgpu-corpus repo=zjin-lcf/HeCBench kind=compiled arch=gfx90a opt=O3
	.text
	.amdgcn_target "amdgcn-amd-amdhsa--gfx90a"
	.amdhsa_code_object_version 6
	.protected	_Z24ldpc_cnp_kernel_1st_iterPKfPfS1_PKcPK9h_element ; -- Begin function _Z24ldpc_cnp_kernel_1st_iterPKfPfS1_PKcPK9h_element
	.globl	_Z24ldpc_cnp_kernel_1st_iterPKfPfS1_PKcPK9h_element
	.p2align	8
	.type	_Z24ldpc_cnp_kernel_1st_iterPKfPfS1_PKcPK9h_element,@function
_Z24ldpc_cnp_kernel_1st_iterPKfPfS1_PKcPK9h_element: ; @_Z24ldpc_cnp_kernel_1st_iterPKfPfS1_PKcPK9h_element
; %bb.0:
	s_load_dwordx8 s[8:15], s[4:5], 0x0
	s_mov_b32 s0, s7
	s_ashr_i32 s7, s6, 31
	v_mov_b32_e32 v1, 0
	v_bfe_u32 v3, v0, 10, 10
	s_waitcnt lgkmcnt(0)
	s_add_u32 s2, s14, s6
	s_addc_u32 s3, s15, s7
	global_load_sbyte v4, v1, s[2:3]
	s_load_dwordx2 s[2:3], s[4:5], 0x20
	s_mov_b32 s19, 0
	v_and_b32_e32 v2, 0x3ff, v0
	v_lshl_add_u32 v3, s0, 1, v3
	v_mov_b32_e32 v0, 0x447a0000
	s_waitcnt vmcnt(0)
	v_cmp_gt_i32_e32 vcc, 1, v4
	v_readfirstlane_b32 s18, v4
	v_cmp_lt_i32_e64 s[0:1], 0, v4
	s_cbranch_vccnz .LBB0_11
; %bb.1:
	s_movk_i32 s4, 0x900
	v_mul_lo_u32 v5, v3, s4
	s_lshl_b64 s[4:5], s[6:7], 2
	s_waitcnt lgkmcnt(0)
	s_add_u32 s4, s4, s2
	s_addc_u32 s5, s5, s3
	s_add_u32 s4, s4, 1
	s_addc_u32 s5, s5, 0
	v_mov_b32_e32 v6, 0
	v_mov_b32_e32 v0, 0x447a0000
	v_mov_b32_e32 v7, 1.0
	s_movk_i32 s20, 0x5f
	s_movk_i32 s21, 0x60
	v_mov_b32_e32 v8, s9
	v_mov_b32_e32 v9, 0
	;; [unrolled: 1-line block ×3, first 2 shown]
.LBB0_2:                                ; =>This Inner Loop Header: Depth=1
	global_load_ushort v4, v1, s[4:5]
	s_waitcnt vmcnt(0)
	v_lshrrev_b16_e32 v11, 8, v4
	v_add_u32_sdwa v11, v2, sext(v11) dst_sel:DWORD dst_unused:UNUSED_PAD src0_sel:DWORD src1_sel:BYTE_0
	v_bfe_i32 v4, v4, 0, 8
	v_add_u32_e32 v12, 0xffffffa0, v11
	v_cmp_lt_i32_e32 vcc, s20, v11
	v_mul_lo_u32 v4, v4, s21
	v_cndmask_b32_e32 v11, v11, v12, vcc
	v_add3_u32 v12, v4, v5, v11
	v_ashrrev_i32_e32 v13, 31, v12
	v_lshlrev_b64 v[12:13], 2, v[12:13]
	v_add_co_u32_e32 v12, vcc, s8, v12
	v_addc_co_u32_e32 v13, vcc, v8, v13, vcc
	global_load_dword v11, v[12:13], off
	s_waitcnt vmcnt(0)
	v_and_b32_e32 v12, 0x7fffffff, v11
	v_cmp_nlt_f32_e64 s[14:15], |v11|, v10
	s_and_saveexec_b64 s[16:17], s[14:15]
	s_xor_b64 s[14:15], exec, s[16:17]
	s_cbranch_execz .LBB0_6
; %bb.3:                                ;   in Loop: Header=BB0_2 Depth=1
	v_cmp_lt_f32_e64 s[22:23], |v11|, v0
	s_and_saveexec_b64 s[16:17], s[22:23]
; %bb.4:                                ;   in Loop: Header=BB0_2 Depth=1
	v_mov_b32_e32 v0, v12
; %bb.5:                                ;   in Loop: Header=BB0_2 Depth=1
	s_or_b64 exec, exec, s[16:17]
                                        ; implicit-def: $vgpr12
.LBB0_6:                                ;   in Loop: Header=BB0_2 Depth=1
	s_or_saveexec_b64 s[14:15], s[14:15]
	v_mov_b32_e32 v4, v10
	s_xor_b64 exec, exec, s[14:15]
; %bb.7:                                ;   in Loop: Header=BB0_2 Depth=1
	v_mov_b32_e32 v9, s19
	v_mov_b32_e32 v4, v12
	v_mov_b32_e32 v0, v10
; %bb.8:                                ;   in Loop: Header=BB0_2 Depth=1
	s_or_b64 exec, exec, s[14:15]
	v_cmp_gt_f32_e32 vcc, 0, v11
	v_cndmask_b32_e64 v10, 0, 1, vcc
	v_lshlrev_b32_e32 v10, s19, v10
	s_add_i32 s19, s19, 1
	s_add_u32 s4, s4, 48
	s_addc_u32 s5, s5, 0
	v_cndmask_b32_e64 v7, v7, -v7, vcc
	s_cmp_eq_u32 s18, s19
	v_or_b32_e32 v6, v6, v10
	s_cbranch_scc1 .LBB0_10
; %bb.9:                                ;   in Loop: Header=BB0_2 Depth=1
	v_mov_b32_e32 v10, v4
	s_branch .LBB0_2
.LBB0_10:
	v_bfe_i32 v1, v6, 0, 8
	v_mul_f32_e32 v5, 0x3f400000, v7
	v_bfe_i32 v6, v9, 0, 8
	s_andn2_b64 vcc, exec, s[0:1]
	s_cbranch_vccz .LBB0_12
	s_branch .LBB0_14
.LBB0_11:
	v_mov_b32_e32 v5, 0x3f400000
	v_mov_b32_e32 v6, 0
	;; [unrolled: 1-line block ×3, first 2 shown]
	s_andn2_b64 vcc, exec, s[0:1]
	s_cbranch_vccnz .LBB0_14
.LBB0_12:
	s_movk_i32 s0, 0x6c00
	v_mul_lo_u32 v3, v3, s0
	s_mul_i32 s0, s6, 0x60
	v_add3_u32 v2, s0, v2, v3
	s_lshl_b64 s[0:1], s[6:7], 2
	s_waitcnt lgkmcnt(0)
	s_add_u32 s0, s0, s2
	s_addc_u32 s1, s1, s3
	s_add_u32 s0, s0, 1
	s_addc_u32 s1, s1, 0
	s_mov_b32 s2, 0
	v_mov_b32_e32 v3, 0
	s_movk_i32 s3, 0x480
	v_mov_b32_e32 v7, s11
	v_mov_b32_e32 v8, s13
.LBB0_13:                               ; =>This Inner Loop Header: Depth=1
	global_load_sbyte v9, v3, s[0:1]
	v_lshrrev_b32_e32 v10, s2, v1
	v_lshlrev_b16_e32 v10, 1, v10
	v_and_b32_e32 v10, 2, v10
	v_sub_u16_e32 v10, 1, v10
	v_cvt_f32_i32_sdwa v10, sext(v10) dst_sel:DWORD dst_unused:UNUSED_PAD src0_sel:WORD_0
	v_cmp_eq_u32_e32 vcc, s2, v6
	v_cndmask_b32_e32 v11, v4, v0, vcc
	s_add_i32 s2, s2, 1
	v_mul_f32_e32 v10, v5, v10
	v_mul_f32_e32 v14, v11, v10
	s_add_u32 s0, s0, 48
	s_addc_u32 s1, s1, 0
	s_cmp_eq_u32 s18, s2
	s_waitcnt vmcnt(0)
	v_mul_lo_u32 v9, v9, s3
	v_add_u32_e32 v10, v2, v9
	v_ashrrev_i32_e32 v11, 31, v10
	v_lshlrev_b64 v[10:11], 2, v[10:11]
	v_add_co_u32_e32 v12, vcc, s10, v10
	v_addc_co_u32_e32 v13, vcc, v7, v11, vcc
	v_add_co_u32_e32 v10, vcc, s12, v10
	v_addc_co_u32_e32 v11, vcc, v8, v11, vcc
	global_store_dword v[12:13], v14, off
	global_store_dword v[10:11], v14, off
	s_cbranch_scc0 .LBB0_13
.LBB0_14:
	s_endpgm
	.section	.rodata,"a",@progbits
	.p2align	6, 0x0
	.amdhsa_kernel _Z24ldpc_cnp_kernel_1st_iterPKfPfS1_PKcPK9h_element
		.amdhsa_group_segment_fixed_size 0
		.amdhsa_private_segment_fixed_size 0
		.amdhsa_kernarg_size 40
		.amdhsa_user_sgpr_count 6
		.amdhsa_user_sgpr_private_segment_buffer 1
		.amdhsa_user_sgpr_dispatch_ptr 0
		.amdhsa_user_sgpr_queue_ptr 0
		.amdhsa_user_sgpr_kernarg_segment_ptr 1
		.amdhsa_user_sgpr_dispatch_id 0
		.amdhsa_user_sgpr_flat_scratch_init 0
		.amdhsa_user_sgpr_kernarg_preload_length 0
		.amdhsa_user_sgpr_kernarg_preload_offset 0
		.amdhsa_user_sgpr_private_segment_size 0
		.amdhsa_uses_dynamic_stack 0
		.amdhsa_system_sgpr_private_segment_wavefront_offset 0
		.amdhsa_system_sgpr_workgroup_id_x 1
		.amdhsa_system_sgpr_workgroup_id_y 1
		.amdhsa_system_sgpr_workgroup_id_z 0
		.amdhsa_system_sgpr_workgroup_info 0
		.amdhsa_system_vgpr_workitem_id 1
		.amdhsa_next_free_vgpr 15
		.amdhsa_next_free_sgpr 24
		.amdhsa_accum_offset 16
		.amdhsa_reserve_vcc 1
		.amdhsa_reserve_flat_scratch 0
		.amdhsa_float_round_mode_32 0
		.amdhsa_float_round_mode_16_64 0
		.amdhsa_float_denorm_mode_32 3
		.amdhsa_float_denorm_mode_16_64 3
		.amdhsa_dx10_clamp 1
		.amdhsa_ieee_mode 1
		.amdhsa_fp16_overflow 0
		.amdhsa_tg_split 0
		.amdhsa_exception_fp_ieee_invalid_op 0
		.amdhsa_exception_fp_denorm_src 0
		.amdhsa_exception_fp_ieee_div_zero 0
		.amdhsa_exception_fp_ieee_overflow 0
		.amdhsa_exception_fp_ieee_underflow 0
		.amdhsa_exception_fp_ieee_inexact 0
		.amdhsa_exception_int_div_zero 0
	.end_amdhsa_kernel
	.text
.Lfunc_end0:
	.size	_Z24ldpc_cnp_kernel_1st_iterPKfPfS1_PKcPK9h_element, .Lfunc_end0-_Z24ldpc_cnp_kernel_1st_iterPKfPfS1_PKcPK9h_element
                                        ; -- End function
	.section	.AMDGPU.csdata,"",@progbits
; Kernel info:
; codeLenInByte = 680
; NumSgprs: 28
; NumVgprs: 15
; NumAgprs: 0
; TotalNumVgprs: 15
; ScratchSize: 0
; MemoryBound: 0
; FloatMode: 240
; IeeeMode: 1
; LDSByteSize: 0 bytes/workgroup (compile time only)
; SGPRBlocks: 3
; VGPRBlocks: 1
; NumSGPRsForWavesPerEU: 28
; NumVGPRsForWavesPerEU: 15
; AccumOffset: 16
; Occupancy: 8
; WaveLimiterHint : 1
; COMPUTE_PGM_RSRC2:SCRATCH_EN: 0
; COMPUTE_PGM_RSRC2:USER_SGPR: 6
; COMPUTE_PGM_RSRC2:TRAP_HANDLER: 0
; COMPUTE_PGM_RSRC2:TGID_X_EN: 1
; COMPUTE_PGM_RSRC2:TGID_Y_EN: 1
; COMPUTE_PGM_RSRC2:TGID_Z_EN: 0
; COMPUTE_PGM_RSRC2:TIDIG_COMP_CNT: 1
; COMPUTE_PGM_RSRC3_GFX90A:ACCUM_OFFSET: 3
; COMPUTE_PGM_RSRC3_GFX90A:TG_SPLIT: 0
	.text
	.protected	_Z15ldpc_cnp_kernelPKfPfS1_PKcPK9h_element ; -- Begin function _Z15ldpc_cnp_kernelPKfPfS1_PKcPK9h_element
	.globl	_Z15ldpc_cnp_kernelPKfPfS1_PKcPK9h_element
	.p2align	8
	.type	_Z15ldpc_cnp_kernelPKfPfS1_PKcPK9h_element,@function
_Z15ldpc_cnp_kernelPKfPfS1_PKcPK9h_element: ; @_Z15ldpc_cnp_kernelPKfPfS1_PKcPK9h_element
; %bb.0:
	s_load_dword s1, s[4:5], 0x34
	s_load_dwordx8 s[8:15], s[4:5], 0x0
	s_mov_b32 s0, s7
	s_ashr_i32 s7, s6, 31
	v_mov_b32_e32 v6, 0
	s_waitcnt lgkmcnt(0)
	s_and_b32 s1, s1, 0xffff
	s_add_u32 s2, s14, s6
	s_addc_u32 s3, s15, s7
	global_load_ubyte v4, v6, s[2:3]
	s_load_dwordx2 s[2:3], s[4:5], 0x20
	v_bfe_u32 v1, v0, 10, 10
	v_lshl_add_u32 v3, s0, 1, v1
	s_movk_i32 s4, 0x6c00
	v_and_b32_e32 v8, 0x3ff, v0
	s_mul_i32 s5, s6, 0x60
	v_mul_lo_u32 v0, v3, s4
	s_mov_b32 s16, 0
	v_add3_u32 v0, s5, v8, v0
	v_mad_u32_u24 v2, v1, s1, v8
	v_mov_b32_e32 v1, 0x447a0000
	s_waitcnt vmcnt(0)
	v_readfirstlane_b32 s0, v4
	s_sext_i32_i8 s20, s0
	s_cmp_gt_i32 s20, 0
	s_cselect_b64 s[0:1], -1, 0
	s_cmp_lt_i32 s20, 1
	s_cbranch_scc1 .LBB1_17
; %bb.1:
	s_movk_i32 s4, 0x900
	v_mov_b32_e32 v1, 1
	v_mul_lo_u32 v9, v3, s4
	v_cmp_eq_u16_sdwa s[4:5], v4, v1 src0_sel:BYTE_0 src1_sel:DWORD
	s_and_b64 vcc, exec, s[4:5]
	v_mov_b32_e32 v3, 0x447a0000
	v_mov_b32_e32 v7, 0
	s_cbranch_vccnz .LBB1_18
; %bb.2:
	s_and_b32 s21, s20, 0x7e
	s_add_i32 s4, s6, 12
	s_lshl_b64 s[14:15], s[6:7], 2
	s_waitcnt lgkmcnt(0)
	s_add_u32 s5, s14, s2
	s_addc_u32 s15, s15, s3
	s_add_u32 s14, s5, 1
	v_lshl_add_u32 v10, v2, 2, 0
	s_addc_u32 s15, s15, 0
	s_mov_b32 s25, 1
	v_mov_b32_e32 v6, 0
	v_mov_b32_e32 v1, 0x447a0000
	v_mov_b32_e32 v5, 1.0
	v_mov_b32_e32 v11, 0
	s_movk_i32 s22, 0x5f
	s_movk_i32 s23, 0x60
	;; [unrolled: 1-line block ×3, first 2 shown]
	v_mov_b32_e32 v12, s13
	v_mov_b32_e32 v13, s9
	v_mov_b32_e32 v7, 0
	v_mov_b32_e32 v3, 0x447a0000
.LBB1_3:                                ; =>This Inner Loop Header: Depth=1
	global_load_ushort v14, v11, s[14:15]
	s_waitcnt vmcnt(0)
	v_lshrrev_b16_e32 v15, 8, v14
	v_bfe_i32 v14, v14, 0, 8
	v_add_u32_sdwa v15, v8, sext(v15) dst_sel:DWORD dst_unused:UNUSED_PAD src0_sel:DWORD src1_sel:BYTE_0
	v_mul_lo_u32 v16, v14, s23
	v_mul_lo_u32 v14, v14, s24
	v_add_u32_e32 v17, 0xffffffa0, v15
	v_add_u32_e32 v14, v14, v0
	v_cmp_lt_i32_e32 vcc, s22, v15
	v_cndmask_b32_e32 v17, v15, v17, vcc
	v_ashrrev_i32_e32 v15, 31, v14
	v_lshlrev_b64 v[14:15], 2, v[14:15]
	v_add3_u32 v16, v16, v9, v17
	v_add_co_u32_e32 v14, vcc, s12, v14
	v_addc_co_u32_e32 v15, vcc, v12, v15, vcc
	v_ashrrev_i32_e32 v17, 31, v16
	global_load_dword v18, v[14:15], off
	v_lshlrev_b64 v[14:15], 2, v[16:17]
	v_add_co_u32_e32 v14, vcc, s8, v14
	v_addc_co_u32_e32 v15, vcc, v13, v15, vcc
	global_load_dword v14, v[14:15], off
	s_waitcnt vmcnt(1)
	ds_write_b32 v10, v18
	s_waitcnt vmcnt(0)
	v_sub_f32_e32 v14, v14, v18
	v_and_b32_e32 v16, 0x7fffffff, v14
	v_cmp_nlt_f32_e64 s[16:17], |v14|, v3
	s_and_saveexec_b64 s[18:19], s[16:17]
	s_xor_b64 s[16:17], exec, s[18:19]
	s_cbranch_execz .LBB1_7
; %bb.4:                                ;   in Loop: Header=BB1_3 Depth=1
	v_cmp_lt_f32_e64 s[26:27], |v14|, v1
	s_and_saveexec_b64 s[18:19], s[26:27]
; %bb.5:                                ;   in Loop: Header=BB1_3 Depth=1
	v_mov_b32_e32 v1, v16
; %bb.6:                                ;   in Loop: Header=BB1_3 Depth=1
	s_or_b64 exec, exec, s[18:19]
                                        ; implicit-def: $vgpr16
.LBB1_7:                                ;   in Loop: Header=BB1_3 Depth=1
	s_or_saveexec_b64 s[16:17], s[16:17]
	s_add_i32 s26, s25, -1
	v_mov_b32_e32 v15, v3
	s_xor_b64 exec, exec, s[16:17]
; %bb.8:                                ;   in Loop: Header=BB1_3 Depth=1
	v_mov_b32_e32 v7, s26
	v_mov_b32_e32 v15, v16
	;; [unrolled: 1-line block ×3, first 2 shown]
; %bb.9:                                ;   in Loop: Header=BB1_3 Depth=1
	s_or_b64 exec, exec, s[16:17]
	s_ashr_i32 s5, s4, 31
	s_lshl_b64 s[16:17], s[4:5], 2
	s_add_u32 s16, s2, s16
	s_addc_u32 s17, s3, s17
	global_load_ushort v3, v11, s[16:17] offset:1
	s_waitcnt vmcnt(0)
	v_lshrrev_b16_e32 v16, 8, v3
	v_bfe_i32 v3, v3, 0, 8
	v_add_u32_sdwa v17, v8, sext(v16) dst_sel:DWORD dst_unused:UNUSED_PAD src0_sel:DWORD src1_sel:BYTE_0
	v_mul_lo_u32 v18, v3, s23
	v_mul_lo_u32 v3, v3, s24
	v_add_u32_e32 v19, 0xffffffa0, v17
	v_add_u32_e32 v16, v3, v0
	v_cmp_lt_i32_e32 vcc, s22, v17
	v_cndmask_b32_e32 v3, v17, v19, vcc
	v_ashrrev_i32_e32 v17, 31, v16
	v_lshlrev_b64 v[16:17], 2, v[16:17]
	v_add3_u32 v18, v18, v9, v3
	v_add_co_u32_e32 v16, vcc, s12, v16
	v_addc_co_u32_e32 v17, vcc, v12, v17, vcc
	v_ashrrev_i32_e32 v19, 31, v18
	global_load_dword v3, v[16:17], off
	v_lshlrev_b64 v[16:17], 2, v[18:19]
	v_add_co_u32_e32 v16, vcc, s8, v16
	v_addc_co_u32_e32 v17, vcc, v13, v17, vcc
	global_load_dword v16, v[16:17], off
	s_waitcnt vmcnt(1)
	ds_write_b32 v10, v3 offset:768
	s_waitcnt vmcnt(0)
	v_sub_f32_e32 v16, v16, v3
	v_and_b32_e32 v17, 0x7fffffff, v16
	v_cmp_nlt_f32_e64 s[16:17], |v16|, v15
	s_and_saveexec_b64 s[18:19], s[16:17]
	s_xor_b64 s[16:17], exec, s[18:19]
	s_cbranch_execz .LBB1_13
; %bb.10:                               ;   in Loop: Header=BB1_3 Depth=1
	v_cmp_lt_f32_e64 s[28:29], |v16|, v1
	s_and_saveexec_b64 s[18:19], s[28:29]
; %bb.11:                               ;   in Loop: Header=BB1_3 Depth=1
	v_mov_b32_e32 v1, v17
; %bb.12:                               ;   in Loop: Header=BB1_3 Depth=1
	s_or_b64 exec, exec, s[18:19]
                                        ; implicit-def: $vgpr17
.LBB1_13:                               ;   in Loop: Header=BB1_3 Depth=1
	s_or_saveexec_b64 s[16:17], s[16:17]
	v_mov_b32_e32 v3, v15
	s_xor_b64 exec, exec, s[16:17]
; %bb.14:                               ;   in Loop: Header=BB1_3 Depth=1
	v_mov_b32_e32 v7, s25
	v_mov_b32_e32 v3, v17
	;; [unrolled: 1-line block ×3, first 2 shown]
; %bb.15:                               ;   in Loop: Header=BB1_3 Depth=1
	s_or_b64 exec, exec, s[16:17]
	v_cmp_gt_f32_e32 vcc, 0, v14
	v_cndmask_b32_e64 v14, 0, 1, vcc
	v_cndmask_b32_e64 v5, v5, -v5, vcc
	v_lshlrev_b32_e32 v14, s26, v14
	v_cmp_gt_f32_e32 vcc, 0, v16
	s_add_i32 s5, s25, 2
	s_add_i32 s4, s4, 24
	v_or_b32_e32 v6, v6, v14
	v_cndmask_b32_e64 v14, 0, 1, vcc
	s_add_u32 s14, s14, 0x60
	v_lshlrev_b32_e32 v14, s25, v14
	s_addc_u32 s15, s15, 0
	s_add_i32 s16, s25, 1
	v_cndmask_b32_e64 v5, v5, -v5, vcc
	v_or_b32_e32 v6, v6, v14
	s_cmp_eq_u32 s16, s21
	v_add_u32_e32 v10, 0x600, v10
	s_cbranch_scc1 .LBB1_19
; %bb.16:                               ;   in Loop: Header=BB1_3 Depth=1
	s_mov_b32 s25, s5
	s_branch .LBB1_3
.LBB1_17:
	v_mov_b32_e32 v5, 0x3f400000
	v_mov_b32_e32 v7, 0
	;; [unrolled: 1-line block ×3, first 2 shown]
	s_branch .LBB1_28
.LBB1_18:
	v_mov_b32_e32 v5, 1.0
	v_mov_b32_e32 v1, 0x447a0000
	v_mov_b32_e32 v6, 0
.LBB1_19:
	s_bitcmp0_b32 s20, 0
	s_cbranch_scc1 .LBB1_27
; %bb.20:
	s_mul_i32 s4, s16, 12
	s_add_i32 s4, s4, s6
	s_ashr_i32 s5, s4, 31
	s_lshl_b64 s[4:5], s[4:5], 2
	s_waitcnt lgkmcnt(0)
	s_add_u32 s4, s2, s4
	s_addc_u32 s5, s3, s5
	v_mov_b32_e32 v10, 0
	global_load_ushort v10, v10, s[4:5] offset:1
	s_movk_i32 s5, 0x60
	s_movk_i32 s14, 0x480
	;; [unrolled: 1-line block ×3, first 2 shown]
	v_mov_b32_e32 v12, s13
	v_mov_b32_e32 v13, s9
	s_waitcnt vmcnt(0)
	v_lshrrev_b16_e32 v11, 8, v10
	v_bfe_i32 v10, v10, 0, 8
	v_add_u32_sdwa v8, v8, sext(v11) dst_sel:DWORD dst_unused:UNUSED_PAD src0_sel:DWORD src1_sel:BYTE_0
	v_mul_lo_u32 v14, v10, s5
	v_mul_lo_u32 v10, v10, s14
	v_add_u32_e32 v11, 0xffffffa0, v8
	v_add_u32_e32 v10, v10, v0
	v_cmp_lt_i32_e32 vcc, s4, v8
	v_cndmask_b32_e32 v8, v8, v11, vcc
	v_ashrrev_i32_e32 v11, 31, v10
	v_lshlrev_b64 v[10:11], 2, v[10:11]
	v_add3_u32 v8, v14, v9, v8
	v_add_co_u32_e32 v10, vcc, s12, v10
	v_ashrrev_i32_e32 v9, 31, v8
	v_addc_co_u32_e32 v11, vcc, v12, v11, vcc
	v_lshlrev_b64 v[8:9], 2, v[8:9]
	v_add_co_u32_e32 v8, vcc, s8, v8
	v_addc_co_u32_e32 v9, vcc, v13, v9, vcc
	global_load_dword v10, v[10:11], off
	s_mul_i32 s4, s16, 0xc0
	global_load_dword v8, v[8:9], off
	v_add_u32_e32 v9, s4, v2
	v_lshl_add_u32 v9, v9, 2, 0
	s_waitcnt vmcnt(1)
	ds_write_b32 v9, v10
	s_waitcnt vmcnt(0)
	v_sub_f32_e32 v9, v8, v10
	v_cmp_gt_f32_e32 vcc, 0, v9
	v_cndmask_b32_e64 v10, 0, 1, vcc
	v_lshlrev_b32_e32 v10, s16, v10
	v_and_b32_e32 v8, 0x7fffffff, v9
	v_cndmask_b32_e64 v5, v5, -v5, vcc
	v_or_b32_e32 v6, v6, v10
	v_cmp_nlt_f32_e64 s[4:5], |v9|, v3
	s_and_saveexec_b64 s[8:9], s[4:5]
	s_xor_b64 s[4:5], exec, s[8:9]
	s_cbranch_execz .LBB1_24
; %bb.21:
	v_cmp_lt_f32_e64 s[14:15], |v9|, v1
	s_and_saveexec_b64 s[8:9], s[14:15]
; %bb.22:
	v_mov_b32_e32 v1, v8
; %bb.23:
	s_or_b64 exec, exec, s[8:9]
                                        ; implicit-def: $vgpr8
.LBB1_24:
	s_andn2_saveexec_b64 s[4:5], s[4:5]
; %bb.25:
	v_mov_b32_e32 v7, s16
	v_mov_b32_e32 v1, v3
	;; [unrolled: 1-line block ×3, first 2 shown]
; %bb.26:
	s_or_b64 exec, exec, s[4:5]
.LBB1_27:
	v_bfe_i32 v6, v6, 0, 8
	v_mul_f32_e32 v5, 0x3f400000, v5
	v_bfe_i32 v7, v7, 0, 8
.LBB1_28:
	s_andn2_b64 vcc, exec, s[0:1]
	s_waitcnt lgkmcnt(0)
	s_barrier
	s_cbranch_vccnz .LBB1_35
; %bb.29:
	v_mov_b32_e32 v8, 4
	v_cmp_lt_u16_sdwa s[0:1], v4, v8 src0_sel:BYTE_0 src1_sel:DWORD
	s_mov_b32 s8, 0
	s_and_b64 vcc, exec, s[0:1]
	s_cbranch_vccnz .LBB1_32
; %bb.30:
	s_and_b32 s9, s20, 0x7c
	s_add_i32 s0, s6, 36
	s_lshl_b64 s[4:5], s[6:7], 2
	s_add_u32 s1, s4, s2
	s_addc_u32 s5, s5, s3
	s_add_u32 s4, s1, 1
	v_lshl_add_u32 v4, v2, 2, 0
	s_addc_u32 s5, s5, 0
	v_mov_b32_e32 v8, 0
	s_movk_i32 s7, 0x480
	v_mov_b32_e32 v9, s11
	v_mov_b32_e32 v10, s13
.LBB1_31:                               ; =>This Inner Loop Header: Depth=1
	global_load_sbyte v11, v8, s[4:5]
	v_lshrrev_b32_e32 v14, s8, v6
	v_lshlrev_b16_e32 v14, 1, v14
	v_and_b32_e32 v14, 2, v14
	v_sub_u16_e32 v14, 1, v14
	ds_read2st64_b32 v[12:13], v4 offset1:3
	v_cvt_f32_i32_sdwa v14, sext(v14) dst_sel:DWORD dst_unused:UNUSED_PAD src0_sel:WORD_0
	v_cmp_eq_u32_e32 vcc, s8, v7
	v_cndmask_b32_e32 v15, v3, v1, vcc
	s_sub_i32 s14, s0, 24
	v_mul_f32_e32 v14, v5, v14
	v_mul_f32_e32 v18, v15, v14
	s_waitcnt lgkmcnt(0)
	v_fma_f32 v12, v15, v14, -v12
	s_ashr_i32 s15, s14, 31
	s_add_i32 s1, s8, 1
	s_lshl_b64 s[14:15], s[14:15], 2
	s_add_u32 s14, s2, s14
	s_addc_u32 s15, s3, s15
	s_waitcnt vmcnt(0)
	v_mul_lo_u32 v11, v11, s7
	v_add_u32_e32 v14, v11, v0
	v_ashrrev_i32_e32 v15, 31, v14
	v_lshlrev_b64 v[14:15], 2, v[14:15]
	v_add_co_u32_e32 v16, vcc, s10, v14
	v_addc_co_u32_e32 v17, vcc, v9, v15, vcc
	v_add_co_u32_e32 v14, vcc, s12, v14
	v_addc_co_u32_e32 v15, vcc, v10, v15, vcc
	global_store_dword v[16:17], v12, off
	global_store_dword v[14:15], v18, off
	global_load_sbyte v11, v8, s[14:15] offset:1
	v_lshrrev_b32_e32 v12, s1, v6
	v_lshlrev_b16_e32 v12, 1, v12
	v_and_b32_e32 v12, 2, v12
	v_sub_u16_e32 v12, 1, v12
	v_cvt_f32_i32_sdwa v12, sext(v12) dst_sel:DWORD dst_unused:UNUSED_PAD src0_sel:WORD_0
	v_cmp_eq_u32_e32 vcc, s1, v7
	v_cndmask_b32_e32 v14, v3, v1, vcc
	s_add_i32 s14, s0, -12
	v_mul_f32_e32 v12, v5, v12
	v_mul_f32_e32 v16, v14, v12
	v_fma_f32 v17, v14, v12, -v13
	s_ashr_i32 s15, s14, 31
	s_add_i32 s1, s8, 2
	s_lshl_b64 s[14:15], s[14:15], 2
	s_add_u32 s14, s2, s14
	s_addc_u32 s15, s3, s15
	s_add_i32 s16, s8, 3
	s_waitcnt vmcnt(0)
	v_mul_lo_u32 v11, v11, s7
	v_add_u32_e32 v12, v11, v0
	v_ashrrev_i32_e32 v13, 31, v12
	v_lshlrev_b64 v[12:13], 2, v[12:13]
	v_add_co_u32_e32 v14, vcc, s10, v12
	v_addc_co_u32_e32 v15, vcc, v9, v13, vcc
	v_add_co_u32_e32 v12, vcc, s12, v12
	v_addc_co_u32_e32 v13, vcc, v10, v13, vcc
	global_store_dword v[14:15], v17, off
	global_store_dword v[12:13], v16, off
	global_load_sbyte v11, v8, s[14:15] offset:1
	v_lshrrev_b32_e32 v14, s1, v6
	v_lshlrev_b16_e32 v14, 1, v14
	v_and_b32_e32 v14, 2, v14
	v_sub_u16_e32 v14, 1, v14
	ds_read2st64_b32 v[12:13], v4 offset0:6 offset1:9
	v_cvt_f32_i32_sdwa v14, sext(v14) dst_sel:DWORD dst_unused:UNUSED_PAD src0_sel:WORD_0
	v_cmp_eq_u32_e32 vcc, s1, v7
	v_cndmask_b32_e32 v15, v3, v1, vcc
	s_ashr_i32 s1, s0, 31
	v_mul_f32_e32 v14, v5, v14
	v_mul_f32_e32 v18, v15, v14
	s_waitcnt lgkmcnt(0)
	v_fma_f32 v12, v15, v14, -v12
	s_lshl_b64 s[14:15], s[0:1], 2
	s_add_u32 s14, s2, s14
	s_addc_u32 s15, s3, s15
	s_add_i32 s8, s8, 4
	s_add_i32 s0, s0, 48
	s_add_u32 s4, s4, 0xc0
	s_addc_u32 s5, s5, 0
	v_add_u32_e32 v4, 0xc00, v4
	s_cmp_eq_u32 s8, s9
	s_waitcnt vmcnt(0)
	v_mul_lo_u32 v11, v11, s7
	v_add_u32_e32 v14, v11, v0
	v_ashrrev_i32_e32 v15, 31, v14
	v_lshlrev_b64 v[14:15], 2, v[14:15]
	v_add_co_u32_e32 v16, vcc, s10, v14
	v_addc_co_u32_e32 v17, vcc, v9, v15, vcc
	v_add_co_u32_e32 v14, vcc, s12, v14
	v_addc_co_u32_e32 v15, vcc, v10, v15, vcc
	global_store_dword v[16:17], v12, off
	global_store_dword v[14:15], v18, off
	global_load_sbyte v11, v8, s[14:15] offset:1
	v_lshrrev_b32_e32 v12, s16, v6
	v_lshlrev_b16_e32 v12, 1, v12
	v_and_b32_e32 v12, 2, v12
	v_sub_u16_e32 v12, 1, v12
	v_cvt_f32_i32_sdwa v12, sext(v12) dst_sel:DWORD dst_unused:UNUSED_PAD src0_sel:WORD_0
	v_cmp_eq_u32_e32 vcc, s16, v7
	v_cndmask_b32_e32 v14, v3, v1, vcc
	v_mul_f32_e32 v12, v5, v12
	v_mul_f32_e32 v16, v14, v12
	v_fma_f32 v17, v14, v12, -v13
	s_waitcnt vmcnt(0)
	v_mul_lo_u32 v11, v11, s7
	v_add_u32_e32 v12, v11, v0
	v_ashrrev_i32_e32 v13, 31, v12
	v_lshlrev_b64 v[12:13], 2, v[12:13]
	v_add_co_u32_e32 v14, vcc, s10, v12
	v_addc_co_u32_e32 v15, vcc, v9, v13, vcc
	v_add_co_u32_e32 v12, vcc, s12, v12
	v_addc_co_u32_e32 v13, vcc, v10, v13, vcc
	global_store_dword v[14:15], v17, off
	global_store_dword v[12:13], v16, off
	s_cbranch_scc0 .LBB1_31
.LBB1_32:
	s_and_b32 s4, s20, 3
	s_cmp_eq_u32 s4, 0
	s_cbranch_scc1 .LBB1_35
; %bb.33:
	s_mul_i32 s0, s8, 0xc0
	v_add_u32_e32 v2, s0, v2
	s_mul_i32 s0, s8, 12
	s_add_i32 s0, s6, s0
	s_ashr_i32 s1, s0, 31
	s_lshl_b64 s[0:1], s[0:1], 2
	s_add_u32 s0, s0, s2
	s_addc_u32 s1, s1, s3
	s_add_u32 s0, s0, 1
	v_lshl_add_u32 v2, v2, 2, 0
	s_addc_u32 s1, s1, 0
	v_mov_b32_e32 v4, 0
	s_movk_i32 s2, 0x480
	v_mov_b32_e32 v8, s11
	v_mov_b32_e32 v9, s13
.LBB1_34:                               ; =>This Inner Loop Header: Depth=1
	global_load_sbyte v10, v4, s[0:1]
	v_lshrrev_b32_e32 v11, s8, v6
	v_lshlrev_b16_e32 v11, 1, v11
	v_and_b32_e32 v11, 2, v11
	v_sub_u16_e32 v11, 1, v11
	ds_read_b32 v13, v2
	v_cvt_f32_i32_sdwa v11, sext(v11) dst_sel:DWORD dst_unused:UNUSED_PAD src0_sel:WORD_0
	v_cmp_eq_u32_e32 vcc, s8, v7
	v_cndmask_b32_e32 v12, v3, v1, vcc
	s_add_i32 s8, s8, 1
	v_mul_f32_e32 v11, v5, v11
	v_mul_f32_e32 v14, v12, v11
	s_waitcnt lgkmcnt(0)
	v_fma_f32 v15, v12, v11, -v13
	s_add_u32 s0, s0, 48
	s_addc_u32 s1, s1, 0
	s_add_i32 s4, s4, -1
	v_add_u32_e32 v2, 0x300, v2
	s_cmp_lg_u32 s4, 0
	s_waitcnt vmcnt(0)
	v_mul_lo_u32 v10, v10, s2
	v_add_u32_e32 v10, v10, v0
	v_ashrrev_i32_e32 v11, 31, v10
	v_lshlrev_b64 v[10:11], 2, v[10:11]
	v_add_co_u32_e32 v12, vcc, s10, v10
	v_addc_co_u32_e32 v13, vcc, v8, v11, vcc
	v_add_co_u32_e32 v10, vcc, s12, v10
	v_addc_co_u32_e32 v11, vcc, v9, v11, vcc
	global_store_dword v[12:13], v15, off
	global_store_dword v[10:11], v14, off
	s_cbranch_scc1 .LBB1_34
.LBB1_35:
	s_endpgm
	.section	.rodata,"a",@progbits
	.p2align	6, 0x0
	.amdhsa_kernel _Z15ldpc_cnp_kernelPKfPfS1_PKcPK9h_element
		.amdhsa_group_segment_fixed_size 0
		.amdhsa_private_segment_fixed_size 0
		.amdhsa_kernarg_size 296
		.amdhsa_user_sgpr_count 6
		.amdhsa_user_sgpr_private_segment_buffer 1
		.amdhsa_user_sgpr_dispatch_ptr 0
		.amdhsa_user_sgpr_queue_ptr 0
		.amdhsa_user_sgpr_kernarg_segment_ptr 1
		.amdhsa_user_sgpr_dispatch_id 0
		.amdhsa_user_sgpr_flat_scratch_init 0
		.amdhsa_user_sgpr_kernarg_preload_length 0
		.amdhsa_user_sgpr_kernarg_preload_offset 0
		.amdhsa_user_sgpr_private_segment_size 0
		.amdhsa_uses_dynamic_stack 0
		.amdhsa_system_sgpr_private_segment_wavefront_offset 0
		.amdhsa_system_sgpr_workgroup_id_x 1
		.amdhsa_system_sgpr_workgroup_id_y 1
		.amdhsa_system_sgpr_workgroup_id_z 0
		.amdhsa_system_sgpr_workgroup_info 0
		.amdhsa_system_vgpr_workitem_id 1
		.amdhsa_next_free_vgpr 20
		.amdhsa_next_free_sgpr 30
		.amdhsa_accum_offset 20
		.amdhsa_reserve_vcc 1
		.amdhsa_reserve_flat_scratch 0
		.amdhsa_float_round_mode_32 0
		.amdhsa_float_round_mode_16_64 0
		.amdhsa_float_denorm_mode_32 3
		.amdhsa_float_denorm_mode_16_64 3
		.amdhsa_dx10_clamp 1
		.amdhsa_ieee_mode 1
		.amdhsa_fp16_overflow 0
		.amdhsa_tg_split 0
		.amdhsa_exception_fp_ieee_invalid_op 0
		.amdhsa_exception_fp_denorm_src 0
		.amdhsa_exception_fp_ieee_div_zero 0
		.amdhsa_exception_fp_ieee_overflow 0
		.amdhsa_exception_fp_ieee_underflow 0
		.amdhsa_exception_fp_ieee_inexact 0
		.amdhsa_exception_int_div_zero 0
	.end_amdhsa_kernel
	.text
.Lfunc_end1:
	.size	_Z15ldpc_cnp_kernelPKfPfS1_PKcPK9h_element, .Lfunc_end1-_Z15ldpc_cnp_kernelPKfPfS1_PKcPK9h_element
                                        ; -- End function
	.section	.AMDGPU.csdata,"",@progbits
; Kernel info:
; codeLenInByte = 2212
; NumSgprs: 34
; NumVgprs: 20
; NumAgprs: 0
; TotalNumVgprs: 20
; ScratchSize: 0
; MemoryBound: 0
; FloatMode: 240
; IeeeMode: 1
; LDSByteSize: 0 bytes/workgroup (compile time only)
; SGPRBlocks: 4
; VGPRBlocks: 2
; NumSGPRsForWavesPerEU: 34
; NumVGPRsForWavesPerEU: 20
; AccumOffset: 20
; Occupancy: 8
; WaveLimiterHint : 1
; COMPUTE_PGM_RSRC2:SCRATCH_EN: 0
; COMPUTE_PGM_RSRC2:USER_SGPR: 6
; COMPUTE_PGM_RSRC2:TRAP_HANDLER: 0
; COMPUTE_PGM_RSRC2:TGID_X_EN: 1
; COMPUTE_PGM_RSRC2:TGID_Y_EN: 1
; COMPUTE_PGM_RSRC2:TGID_Z_EN: 0
; COMPUTE_PGM_RSRC2:TIDIG_COMP_CNT: 1
; COMPUTE_PGM_RSRC3_GFX90A:ACCUM_OFFSET: 4
; COMPUTE_PGM_RSRC3_GFX90A:TG_SPLIT: 0
	.text
	.protected	_Z22ldpc_vnp_kernel_normalPfS_PKcPK9h_element ; -- Begin function _Z22ldpc_vnp_kernel_normalPfS_PKcPK9h_element
	.globl	_Z22ldpc_vnp_kernel_normalPfS_PKcPK9h_element
	.p2align	8
	.type	_Z22ldpc_vnp_kernel_normalPfS_PKcPK9h_element,@function
_Z22ldpc_vnp_kernel_normalPfS_PKcPK9h_element: ; @_Z22ldpc_vnp_kernel_normalPfS_PKcPK9h_element
; %bb.0:
	s_load_dwordx8 s[8:15], s[4:5], 0x0
	v_bfe_u32 v1, v0, 10, 10
	v_lshl_add_u32 v6, s7, 1, v1
	s_movk_i32 s1, 0x900
	v_and_b32_e32 v2, 0x3ff, v0
	s_mul_i32 s0, s6, 0x60
	v_mul_lo_u32 v0, v6, s1
	v_add3_u32 v0, s0, v2, v0
	s_ashr_i32 s7, s6, 31
	v_ashrrev_i32_e32 v1, 31, v0
	s_waitcnt lgkmcnt(0)
	s_add_u32 s0, s12, s6
	v_lshlrev_b64 v[0:1], 2, v[0:1]
	s_addc_u32 s1, s13, s7
	v_mov_b32_e32 v4, 0
	v_mov_b32_e32 v3, s9
	global_load_sbyte v5, v4, s[0:1]
	v_add_co_u32_e32 v0, vcc, s8, v0
	v_addc_co_u32_e32 v1, vcc, v3, v1, vcc
	global_load_dword v3, v[0:1], off
	s_movk_i32 s2, 0x60
	s_waitcnt vmcnt(1)
	v_cmp_gt_i32_e32 vcc, 1, v5
	s_cbranch_vccnz .LBB2_3
; %bb.1:
	s_movk_i32 s1, 0x6c00
	s_mul_i32 s0, s6, 0x480
	v_mul_lo_u32 v6, v6, s1
	v_add_u32_e32 v6, s0, v6
	s_lshl_b64 s[0:1], s[6:7], 2
	s_add_u32 s0, s0, s14
	s_addc_u32 s1, s1, s15
	s_add_u32 s0, s0, 2
	s_addc_u32 s1, s1, 0
	v_mov_b32_e32 v7, s11
.LBB2_2:                                ; =>This Inner Loop Header: Depth=1
	global_load_sbyte v8, v4, s[0:1]
	global_load_sbyte v9, v4, s[0:1] offset:-2
	v_add_u32_e32 v5, -1, v5
	s_add_u32 s0, s0, 0x60
	s_addc_u32 s1, s1, 0
	s_waitcnt vmcnt(1)
	v_sub_u32_e32 v8, v2, v8
	v_add_u32_e32 v10, 0x60, v8
	v_cmp_gt_i32_e32 vcc, 0, v8
	s_waitcnt vmcnt(0)
	v_mul_lo_u32 v9, v9, s2
	v_cndmask_b32_e32 v8, v8, v10, vcc
	v_add3_u32 v8, v6, v9, v8
	v_ashrrev_i32_e32 v9, 31, v8
	v_lshlrev_b64 v[8:9], 2, v[8:9]
	v_add_co_u32_e32 v8, vcc, s10, v8
	v_addc_co_u32_e32 v9, vcc, v7, v9, vcc
	global_load_dword v8, v[8:9], off
	v_cmp_eq_u32_e32 vcc, 0, v5
	s_waitcnt vmcnt(0)
	v_add_f32_e32 v3, v3, v8
	s_cbranch_vccz .LBB2_2
.LBB2_3:
	s_waitcnt vmcnt(0)
	global_store_dword v[0:1], v3, off
	s_endpgm
	.section	.rodata,"a",@progbits
	.p2align	6, 0x0
	.amdhsa_kernel _Z22ldpc_vnp_kernel_normalPfS_PKcPK9h_element
		.amdhsa_group_segment_fixed_size 0
		.amdhsa_private_segment_fixed_size 0
		.amdhsa_kernarg_size 32
		.amdhsa_user_sgpr_count 6
		.amdhsa_user_sgpr_private_segment_buffer 1
		.amdhsa_user_sgpr_dispatch_ptr 0
		.amdhsa_user_sgpr_queue_ptr 0
		.amdhsa_user_sgpr_kernarg_segment_ptr 1
		.amdhsa_user_sgpr_dispatch_id 0
		.amdhsa_user_sgpr_flat_scratch_init 0
		.amdhsa_user_sgpr_kernarg_preload_length 0
		.amdhsa_user_sgpr_kernarg_preload_offset 0
		.amdhsa_user_sgpr_private_segment_size 0
		.amdhsa_uses_dynamic_stack 0
		.amdhsa_system_sgpr_private_segment_wavefront_offset 0
		.amdhsa_system_sgpr_workgroup_id_x 1
		.amdhsa_system_sgpr_workgroup_id_y 1
		.amdhsa_system_sgpr_workgroup_id_z 0
		.amdhsa_system_sgpr_workgroup_info 0
		.amdhsa_system_vgpr_workitem_id 1
		.amdhsa_next_free_vgpr 11
		.amdhsa_next_free_sgpr 16
		.amdhsa_accum_offset 12
		.amdhsa_reserve_vcc 1
		.amdhsa_reserve_flat_scratch 0
		.amdhsa_float_round_mode_32 0
		.amdhsa_float_round_mode_16_64 0
		.amdhsa_float_denorm_mode_32 3
		.amdhsa_float_denorm_mode_16_64 3
		.amdhsa_dx10_clamp 1
		.amdhsa_ieee_mode 1
		.amdhsa_fp16_overflow 0
		.amdhsa_tg_split 0
		.amdhsa_exception_fp_ieee_invalid_op 0
		.amdhsa_exception_fp_denorm_src 0
		.amdhsa_exception_fp_ieee_div_zero 0
		.amdhsa_exception_fp_ieee_overflow 0
		.amdhsa_exception_fp_ieee_underflow 0
		.amdhsa_exception_fp_ieee_inexact 0
		.amdhsa_exception_int_div_zero 0
	.end_amdhsa_kernel
	.text
.Lfunc_end2:
	.size	_Z22ldpc_vnp_kernel_normalPfS_PKcPK9h_element, .Lfunc_end2-_Z22ldpc_vnp_kernel_normalPfS_PKcPK9h_element
                                        ; -- End function
	.section	.AMDGPU.csdata,"",@progbits
; Kernel info:
; codeLenInByte = 320
; NumSgprs: 20
; NumVgprs: 11
; NumAgprs: 0
; TotalNumVgprs: 11
; ScratchSize: 0
; MemoryBound: 0
; FloatMode: 240
; IeeeMode: 1
; LDSByteSize: 0 bytes/workgroup (compile time only)
; SGPRBlocks: 2
; VGPRBlocks: 1
; NumSGPRsForWavesPerEU: 20
; NumVGPRsForWavesPerEU: 11
; AccumOffset: 12
; Occupancy: 8
; WaveLimiterHint : 1
; COMPUTE_PGM_RSRC2:SCRATCH_EN: 0
; COMPUTE_PGM_RSRC2:USER_SGPR: 6
; COMPUTE_PGM_RSRC2:TRAP_HANDLER: 0
; COMPUTE_PGM_RSRC2:TGID_X_EN: 1
; COMPUTE_PGM_RSRC2:TGID_Y_EN: 1
; COMPUTE_PGM_RSRC2:TGID_Z_EN: 0
; COMPUTE_PGM_RSRC2:TIDIG_COMP_CNT: 1
; COMPUTE_PGM_RSRC3_GFX90A:ACCUM_OFFSET: 2
; COMPUTE_PGM_RSRC3_GFX90A:TG_SPLIT: 0
	.text
	.protected	_Z25ldpc_vnp_kernel_last_iterPKfS0_PiPKcPK9h_element ; -- Begin function _Z25ldpc_vnp_kernel_last_iterPKfS0_PiPKcPK9h_element
	.globl	_Z25ldpc_vnp_kernel_last_iterPKfS0_PiPKcPK9h_element
	.p2align	8
	.type	_Z25ldpc_vnp_kernel_last_iterPKfS0_PiPKcPK9h_element,@function
_Z25ldpc_vnp_kernel_last_iterPKfS0_PiPKcPK9h_element: ; @_Z25ldpc_vnp_kernel_last_iterPKfS0_PiPKcPK9h_element
; %bb.0:
	s_load_dwordx8 s[8:15], s[4:5], 0x0
	v_bfe_u32 v1, v0, 10, 10
	v_lshl_add_u32 v6, s7, 1, v1
	s_movk_i32 s1, 0x900
	v_and_b32_e32 v2, 0x3ff, v0
	s_mul_i32 s0, s6, 0x60
	v_mul_lo_u32 v0, v6, s1
	v_add3_u32 v0, s0, v2, v0
	s_ashr_i32 s7, s6, 31
	v_ashrrev_i32_e32 v1, 31, v0
	s_waitcnt lgkmcnt(0)
	s_add_u32 s0, s14, s6
	v_lshlrev_b64 v[0:1], 2, v[0:1]
	s_addc_u32 s1, s15, s7
	v_mov_b32_e32 v4, 0
	v_mov_b32_e32 v3, s9
	global_load_sbyte v5, v4, s[0:1]
	v_add_co_u32_e32 v8, vcc, s8, v0
	v_addc_co_u32_e32 v9, vcc, v3, v1, vcc
	global_load_dword v3, v[8:9], off
	s_load_dwordx2 s[0:1], s[4:5], 0x20
	s_movk_i32 s2, 0x60
	s_waitcnt vmcnt(1)
	v_cmp_gt_i32_e32 vcc, 1, v5
	s_cbranch_vccnz .LBB3_3
; %bb.1:
	s_movk_i32 s4, 0x6c00
	v_mul_lo_u32 v6, v6, s4
	s_lshl_b64 s[4:5], s[6:7], 2
	s_waitcnt lgkmcnt(0)
	s_add_u32 s0, s4, s0
	s_addc_u32 s1, s5, s1
	s_mul_i32 s3, s6, 0x480
	s_add_u32 s0, s0, 2
	v_add_u32_e32 v6, s3, v6
	s_addc_u32 s1, s1, 0
	v_mov_b32_e32 v7, s11
.LBB3_2:                                ; =>This Inner Loop Header: Depth=1
	global_load_sbyte v8, v4, s[0:1]
	global_load_sbyte v9, v4, s[0:1] offset:-2
	v_add_u32_e32 v5, -1, v5
	s_add_u32 s0, s0, 0x60
	s_addc_u32 s1, s1, 0
	s_waitcnt vmcnt(1)
	v_sub_u32_e32 v8, v2, v8
	v_add_u32_e32 v10, 0x60, v8
	v_cmp_gt_i32_e32 vcc, 0, v8
	s_waitcnt vmcnt(0)
	v_mul_lo_u32 v9, v9, s2
	v_cndmask_b32_e32 v8, v8, v10, vcc
	v_add3_u32 v8, v6, v9, v8
	v_ashrrev_i32_e32 v9, 31, v8
	v_lshlrev_b64 v[8:9], 2, v[8:9]
	v_add_co_u32_e32 v8, vcc, s10, v8
	v_addc_co_u32_e32 v9, vcc, v7, v9, vcc
	global_load_dword v8, v[8:9], off
	v_cmp_eq_u32_e32 vcc, 0, v5
	s_waitcnt vmcnt(0)
	v_add_f32_e32 v3, v3, v8
	s_cbranch_vccz .LBB3_2
.LBB3_3:
	s_waitcnt vmcnt(0)
	v_cmp_nlt_f32_e32 vcc, 0, v3
	v_cndmask_b32_e64 v2, 0, 1, vcc
	v_mov_b32_e32 v3, s13
	v_add_co_u32_e32 v0, vcc, s12, v0
	v_addc_co_u32_e32 v1, vcc, v3, v1, vcc
	global_store_dword v[0:1], v2, off
	s_endpgm
	.section	.rodata,"a",@progbits
	.p2align	6, 0x0
	.amdhsa_kernel _Z25ldpc_vnp_kernel_last_iterPKfS0_PiPKcPK9h_element
		.amdhsa_group_segment_fixed_size 0
		.amdhsa_private_segment_fixed_size 0
		.amdhsa_kernarg_size 40
		.amdhsa_user_sgpr_count 6
		.amdhsa_user_sgpr_private_segment_buffer 1
		.amdhsa_user_sgpr_dispatch_ptr 0
		.amdhsa_user_sgpr_queue_ptr 0
		.amdhsa_user_sgpr_kernarg_segment_ptr 1
		.amdhsa_user_sgpr_dispatch_id 0
		.amdhsa_user_sgpr_flat_scratch_init 0
		.amdhsa_user_sgpr_kernarg_preload_length 0
		.amdhsa_user_sgpr_kernarg_preload_offset 0
		.amdhsa_user_sgpr_private_segment_size 0
		.amdhsa_uses_dynamic_stack 0
		.amdhsa_system_sgpr_private_segment_wavefront_offset 0
		.amdhsa_system_sgpr_workgroup_id_x 1
		.amdhsa_system_sgpr_workgroup_id_y 1
		.amdhsa_system_sgpr_workgroup_id_z 0
		.amdhsa_system_sgpr_workgroup_info 0
		.amdhsa_system_vgpr_workitem_id 1
		.amdhsa_next_free_vgpr 11
		.amdhsa_next_free_sgpr 16
		.amdhsa_accum_offset 12
		.amdhsa_reserve_vcc 1
		.amdhsa_reserve_flat_scratch 0
		.amdhsa_float_round_mode_32 0
		.amdhsa_float_round_mode_16_64 0
		.amdhsa_float_denorm_mode_32 3
		.amdhsa_float_denorm_mode_16_64 3
		.amdhsa_dx10_clamp 1
		.amdhsa_ieee_mode 1
		.amdhsa_fp16_overflow 0
		.amdhsa_tg_split 0
		.amdhsa_exception_fp_ieee_invalid_op 0
		.amdhsa_exception_fp_denorm_src 0
		.amdhsa_exception_fp_ieee_div_zero 0
		.amdhsa_exception_fp_ieee_overflow 0
		.amdhsa_exception_fp_ieee_underflow 0
		.amdhsa_exception_fp_ieee_inexact 0
		.amdhsa_exception_int_div_zero 0
	.end_amdhsa_kernel
	.text
.Lfunc_end3:
	.size	_Z25ldpc_vnp_kernel_last_iterPKfS0_PiPKcPK9h_element, .Lfunc_end3-_Z25ldpc_vnp_kernel_last_iterPKfS0_PiPKcPK9h_element
                                        ; -- End function
	.section	.AMDGPU.csdata,"",@progbits
; Kernel info:
; codeLenInByte = 356
; NumSgprs: 20
; NumVgprs: 11
; NumAgprs: 0
; TotalNumVgprs: 11
; ScratchSize: 0
; MemoryBound: 0
; FloatMode: 240
; IeeeMode: 1
; LDSByteSize: 0 bytes/workgroup (compile time only)
; SGPRBlocks: 2
; VGPRBlocks: 1
; NumSGPRsForWavesPerEU: 20
; NumVGPRsForWavesPerEU: 11
; AccumOffset: 12
; Occupancy: 8
; WaveLimiterHint : 1
; COMPUTE_PGM_RSRC2:SCRATCH_EN: 0
; COMPUTE_PGM_RSRC2:USER_SGPR: 6
; COMPUTE_PGM_RSRC2:TRAP_HANDLER: 0
; COMPUTE_PGM_RSRC2:TGID_X_EN: 1
; COMPUTE_PGM_RSRC2:TGID_Y_EN: 1
; COMPUTE_PGM_RSRC2:TGID_Z_EN: 0
; COMPUTE_PGM_RSRC2:TIDIG_COMP_CNT: 1
; COMPUTE_PGM_RSRC3_GFX90A:ACCUM_OFFSET: 2
; COMPUTE_PGM_RSRC3_GFX90A:TG_SPLIT: 0
	.text
	.p2alignl 6, 3212836864
	.fill 256, 4, 3212836864
	.type	__hip_cuid_bedbf07b84061d3c,@object ; @__hip_cuid_bedbf07b84061d3c
	.section	.bss,"aw",@nobits
	.globl	__hip_cuid_bedbf07b84061d3c
__hip_cuid_bedbf07b84061d3c:
	.byte	0                               ; 0x0
	.size	__hip_cuid_bedbf07b84061d3c, 1

	.ident	"AMD clang version 19.0.0git (https://github.com/RadeonOpenCompute/llvm-project roc-6.4.0 25133 c7fe45cf4b819c5991fe208aaa96edf142730f1d)"
	.section	".note.GNU-stack","",@progbits
	.addrsig
	.addrsig_sym __hip_cuid_bedbf07b84061d3c
	.amdgpu_metadata
---
amdhsa.kernels:
  - .agpr_count:     0
    .args:
      - .address_space:  global
        .offset:         0
        .size:           8
        .value_kind:     global_buffer
      - .address_space:  global
        .offset:         8
        .size:           8
        .value_kind:     global_buffer
      - .address_space:  global
        .offset:         16
        .size:           8
        .value_kind:     global_buffer
      - .address_space:  global
        .offset:         24
        .size:           8
        .value_kind:     global_buffer
      - .address_space:  global
        .offset:         32
        .size:           8
        .value_kind:     global_buffer
    .group_segment_fixed_size: 0
    .kernarg_segment_align: 8
    .kernarg_segment_size: 40
    .language:       OpenCL C
    .language_version:
      - 2
      - 0
    .max_flat_workgroup_size: 1024
    .name:           _Z24ldpc_cnp_kernel_1st_iterPKfPfS1_PKcPK9h_element
    .private_segment_fixed_size: 0
    .sgpr_count:     28
    .sgpr_spill_count: 0
    .symbol:         _Z24ldpc_cnp_kernel_1st_iterPKfPfS1_PKcPK9h_element.kd
    .uniform_work_group_size: 1
    .uses_dynamic_stack: false
    .vgpr_count:     15
    .vgpr_spill_count: 0
    .wavefront_size: 64
  - .agpr_count:     0
    .args:
      - .address_space:  global
        .offset:         0
        .size:           8
        .value_kind:     global_buffer
      - .address_space:  global
        .offset:         8
        .size:           8
        .value_kind:     global_buffer
      - .address_space:  global
        .offset:         16
        .size:           8
        .value_kind:     global_buffer
      - .address_space:  global
        .offset:         24
        .size:           8
        .value_kind:     global_buffer
      - .address_space:  global
        .offset:         32
        .size:           8
        .value_kind:     global_buffer
      - .offset:         40
        .size:           4
        .value_kind:     hidden_block_count_x
      - .offset:         44
        .size:           4
        .value_kind:     hidden_block_count_y
      - .offset:         48
        .size:           4
        .value_kind:     hidden_block_count_z
      - .offset:         52
        .size:           2
        .value_kind:     hidden_group_size_x
      - .offset:         54
        .size:           2
        .value_kind:     hidden_group_size_y
      - .offset:         56
        .size:           2
        .value_kind:     hidden_group_size_z
      - .offset:         58
        .size:           2
        .value_kind:     hidden_remainder_x
      - .offset:         60
        .size:           2
        .value_kind:     hidden_remainder_y
      - .offset:         62
        .size:           2
        .value_kind:     hidden_remainder_z
      - .offset:         80
        .size:           8
        .value_kind:     hidden_global_offset_x
      - .offset:         88
        .size:           8
        .value_kind:     hidden_global_offset_y
      - .offset:         96
        .size:           8
        .value_kind:     hidden_global_offset_z
      - .offset:         104
        .size:           2
        .value_kind:     hidden_grid_dims
      - .offset:         160
        .size:           4
        .value_kind:     hidden_dynamic_lds_size
    .group_segment_fixed_size: 0
    .kernarg_segment_align: 8
    .kernarg_segment_size: 296
    .language:       OpenCL C
    .language_version:
      - 2
      - 0
    .max_flat_workgroup_size: 1024
    .name:           _Z15ldpc_cnp_kernelPKfPfS1_PKcPK9h_element
    .private_segment_fixed_size: 0
    .sgpr_count:     34
    .sgpr_spill_count: 0
    .symbol:         _Z15ldpc_cnp_kernelPKfPfS1_PKcPK9h_element.kd
    .uniform_work_group_size: 1
    .uses_dynamic_stack: false
    .vgpr_count:     20
    .vgpr_spill_count: 0
    .wavefront_size: 64
  - .agpr_count:     0
    .args:
      - .address_space:  global
        .offset:         0
        .size:           8
        .value_kind:     global_buffer
      - .address_space:  global
        .offset:         8
        .size:           8
        .value_kind:     global_buffer
      - .address_space:  global
        .offset:         16
        .size:           8
        .value_kind:     global_buffer
      - .address_space:  global
        .offset:         24
        .size:           8
        .value_kind:     global_buffer
    .group_segment_fixed_size: 0
    .kernarg_segment_align: 8
    .kernarg_segment_size: 32
    .language:       OpenCL C
    .language_version:
      - 2
      - 0
    .max_flat_workgroup_size: 1024
    .name:           _Z22ldpc_vnp_kernel_normalPfS_PKcPK9h_element
    .private_segment_fixed_size: 0
    .sgpr_count:     20
    .sgpr_spill_count: 0
    .symbol:         _Z22ldpc_vnp_kernel_normalPfS_PKcPK9h_element.kd
    .uniform_work_group_size: 1
    .uses_dynamic_stack: false
    .vgpr_count:     11
    .vgpr_spill_count: 0
    .wavefront_size: 64
  - .agpr_count:     0
    .args:
      - .address_space:  global
        .offset:         0
        .size:           8
        .value_kind:     global_buffer
      - .address_space:  global
        .offset:         8
        .size:           8
        .value_kind:     global_buffer
      - .address_space:  global
        .offset:         16
        .size:           8
        .value_kind:     global_buffer
      - .address_space:  global
        .offset:         24
        .size:           8
        .value_kind:     global_buffer
      - .address_space:  global
        .offset:         32
        .size:           8
        .value_kind:     global_buffer
    .group_segment_fixed_size: 0
    .kernarg_segment_align: 8
    .kernarg_segment_size: 40
    .language:       OpenCL C
    .language_version:
      - 2
      - 0
    .max_flat_workgroup_size: 1024
    .name:           _Z25ldpc_vnp_kernel_last_iterPKfS0_PiPKcPK9h_element
    .private_segment_fixed_size: 0
    .sgpr_count:     20
    .sgpr_spill_count: 0
    .symbol:         _Z25ldpc_vnp_kernel_last_iterPKfS0_PiPKcPK9h_element.kd
    .uniform_work_group_size: 1
    .uses_dynamic_stack: false
    .vgpr_count:     11
    .vgpr_spill_count: 0
    .wavefront_size: 64
amdhsa.target:   amdgcn-amd-amdhsa--gfx90a
amdhsa.version:
  - 1
  - 2
...

	.end_amdgpu_metadata
